;; amdgpu-corpus repo=ROCm/rocFFT kind=compiled arch=gfx906 opt=O3
	.text
	.amdgcn_target "amdgcn-amd-amdhsa--gfx906"
	.amdhsa_code_object_version 6
	.protected	fft_rtc_back_len1386_factors_2_7_3_11_3_wgs_231_tpt_231_halfLds_dp_op_CI_CI_unitstride_sbrr_R2C_dirReg ; -- Begin function fft_rtc_back_len1386_factors_2_7_3_11_3_wgs_231_tpt_231_halfLds_dp_op_CI_CI_unitstride_sbrr_R2C_dirReg
	.globl	fft_rtc_back_len1386_factors_2_7_3_11_3_wgs_231_tpt_231_halfLds_dp_op_CI_CI_unitstride_sbrr_R2C_dirReg
	.p2align	8
	.type	fft_rtc_back_len1386_factors_2_7_3_11_3_wgs_231_tpt_231_halfLds_dp_op_CI_CI_unitstride_sbrr_R2C_dirReg,@function
fft_rtc_back_len1386_factors_2_7_3_11_3_wgs_231_tpt_231_halfLds_dp_op_CI_CI_unitstride_sbrr_R2C_dirReg: ; @fft_rtc_back_len1386_factors_2_7_3_11_3_wgs_231_tpt_231_halfLds_dp_op_CI_CI_unitstride_sbrr_R2C_dirReg
; %bb.0:
	s_load_dwordx4 s[8:11], s[4:5], 0x58
	s_load_dwordx4 s[12:15], s[4:5], 0x0
	;; [unrolled: 1-line block ×3, first 2 shown]
	v_mul_u32_u24_e32 v1, 0x11c, v0
	v_add_u32_sdwa v5, s6, v1 dst_sel:DWORD dst_unused:UNUSED_PAD src0_sel:DWORD src1_sel:WORD_1
	v_mov_b32_e32 v3, 0
	s_waitcnt lgkmcnt(0)
	v_cmp_lt_u64_e64 s[0:1], s[14:15], 2
	v_mov_b32_e32 v1, 0
	v_mov_b32_e32 v6, v3
	s_and_b64 vcc, exec, s[0:1]
	v_mov_b32_e32 v2, 0
	s_cbranch_vccnz .LBB0_8
; %bb.1:
	s_load_dwordx2 s[0:1], s[4:5], 0x10
	s_add_u32 s2, s18, 8
	s_addc_u32 s3, s19, 0
	s_add_u32 s6, s16, 8
	v_mov_b32_e32 v1, 0
	s_addc_u32 s7, s17, 0
	v_mov_b32_e32 v2, 0
	s_waitcnt lgkmcnt(0)
	s_add_u32 s20, s0, 8
	v_mov_b32_e32 v45, v2
	s_addc_u32 s21, s1, 0
	s_mov_b64 s[22:23], 1
	v_mov_b32_e32 v44, v1
.LBB0_2:                                ; =>This Inner Loop Header: Depth=1
	s_load_dwordx2 s[24:25], s[20:21], 0x0
                                        ; implicit-def: $vgpr46_vgpr47
	s_waitcnt lgkmcnt(0)
	v_or_b32_e32 v4, s25, v6
	v_cmp_ne_u64_e32 vcc, 0, v[3:4]
	s_and_saveexec_b64 s[0:1], vcc
	s_xor_b64 s[26:27], exec, s[0:1]
	s_cbranch_execz .LBB0_4
; %bb.3:                                ;   in Loop: Header=BB0_2 Depth=1
	v_cvt_f32_u32_e32 v4, s24
	v_cvt_f32_u32_e32 v7, s25
	s_sub_u32 s0, 0, s24
	s_subb_u32 s1, 0, s25
	v_mac_f32_e32 v4, 0x4f800000, v7
	v_rcp_f32_e32 v4, v4
	v_mul_f32_e32 v4, 0x5f7ffffc, v4
	v_mul_f32_e32 v7, 0x2f800000, v4
	v_trunc_f32_e32 v7, v7
	v_mac_f32_e32 v4, 0xcf800000, v7
	v_cvt_u32_f32_e32 v7, v7
	v_cvt_u32_f32_e32 v4, v4
	v_mul_lo_u32 v8, s0, v7
	v_mul_hi_u32 v9, s0, v4
	v_mul_lo_u32 v11, s1, v4
	v_mul_lo_u32 v10, s0, v4
	v_add_u32_e32 v8, v9, v8
	v_add_u32_e32 v8, v8, v11
	v_mul_hi_u32 v9, v4, v10
	v_mul_lo_u32 v11, v4, v8
	v_mul_hi_u32 v13, v4, v8
	v_mul_hi_u32 v12, v7, v10
	v_mul_lo_u32 v10, v7, v10
	v_mul_hi_u32 v14, v7, v8
	v_add_co_u32_e32 v9, vcc, v9, v11
	v_addc_co_u32_e32 v11, vcc, 0, v13, vcc
	v_mul_lo_u32 v8, v7, v8
	v_add_co_u32_e32 v9, vcc, v9, v10
	v_addc_co_u32_e32 v9, vcc, v11, v12, vcc
	v_addc_co_u32_e32 v10, vcc, 0, v14, vcc
	v_add_co_u32_e32 v8, vcc, v9, v8
	v_addc_co_u32_e32 v9, vcc, 0, v10, vcc
	v_add_co_u32_e32 v4, vcc, v4, v8
	v_addc_co_u32_e32 v7, vcc, v7, v9, vcc
	v_mul_lo_u32 v8, s0, v7
	v_mul_hi_u32 v9, s0, v4
	v_mul_lo_u32 v10, s1, v4
	v_mul_lo_u32 v11, s0, v4
	v_add_u32_e32 v8, v9, v8
	v_add_u32_e32 v8, v8, v10
	v_mul_lo_u32 v12, v4, v8
	v_mul_hi_u32 v13, v4, v11
	v_mul_hi_u32 v14, v4, v8
	v_mul_hi_u32 v10, v7, v11
	v_mul_lo_u32 v11, v7, v11
	v_mul_hi_u32 v9, v7, v8
	v_add_co_u32_e32 v12, vcc, v13, v12
	v_addc_co_u32_e32 v13, vcc, 0, v14, vcc
	v_mul_lo_u32 v8, v7, v8
	v_add_co_u32_e32 v11, vcc, v12, v11
	v_addc_co_u32_e32 v10, vcc, v13, v10, vcc
	v_addc_co_u32_e32 v9, vcc, 0, v9, vcc
	v_add_co_u32_e32 v8, vcc, v10, v8
	v_addc_co_u32_e32 v9, vcc, 0, v9, vcc
	v_add_co_u32_e32 v4, vcc, v4, v8
	v_addc_co_u32_e32 v9, vcc, v7, v9, vcc
	v_mad_u64_u32 v[7:8], s[0:1], v5, v9, 0
	v_mul_hi_u32 v10, v5, v4
	v_add_co_u32_e32 v11, vcc, v10, v7
	v_addc_co_u32_e32 v12, vcc, 0, v8, vcc
	v_mad_u64_u32 v[7:8], s[0:1], v6, v4, 0
	v_mad_u64_u32 v[9:10], s[0:1], v6, v9, 0
	v_add_co_u32_e32 v4, vcc, v11, v7
	v_addc_co_u32_e32 v4, vcc, v12, v8, vcc
	v_addc_co_u32_e32 v7, vcc, 0, v10, vcc
	v_add_co_u32_e32 v4, vcc, v4, v9
	v_addc_co_u32_e32 v9, vcc, 0, v7, vcc
	v_mul_lo_u32 v10, s25, v4
	v_mul_lo_u32 v11, s24, v9
	v_mad_u64_u32 v[7:8], s[0:1], s24, v4, 0
	v_add3_u32 v8, v8, v11, v10
	v_sub_u32_e32 v10, v6, v8
	v_mov_b32_e32 v11, s25
	v_sub_co_u32_e32 v7, vcc, v5, v7
	v_subb_co_u32_e64 v10, s[0:1], v10, v11, vcc
	v_subrev_co_u32_e64 v11, s[0:1], s24, v7
	v_subbrev_co_u32_e64 v10, s[0:1], 0, v10, s[0:1]
	v_cmp_le_u32_e64 s[0:1], s25, v10
	v_cndmask_b32_e64 v12, 0, -1, s[0:1]
	v_cmp_le_u32_e64 s[0:1], s24, v11
	v_cndmask_b32_e64 v11, 0, -1, s[0:1]
	v_cmp_eq_u32_e64 s[0:1], s25, v10
	v_cndmask_b32_e64 v10, v12, v11, s[0:1]
	v_add_co_u32_e64 v11, s[0:1], 2, v4
	v_addc_co_u32_e64 v12, s[0:1], 0, v9, s[0:1]
	v_add_co_u32_e64 v13, s[0:1], 1, v4
	v_addc_co_u32_e64 v14, s[0:1], 0, v9, s[0:1]
	v_subb_co_u32_e32 v8, vcc, v6, v8, vcc
	v_cmp_ne_u32_e64 s[0:1], 0, v10
	v_cmp_le_u32_e32 vcc, s25, v8
	v_cndmask_b32_e64 v10, v14, v12, s[0:1]
	v_cndmask_b32_e64 v12, 0, -1, vcc
	v_cmp_le_u32_e32 vcc, s24, v7
	v_cndmask_b32_e64 v7, 0, -1, vcc
	v_cmp_eq_u32_e32 vcc, s25, v8
	v_cndmask_b32_e32 v7, v12, v7, vcc
	v_cmp_ne_u32_e32 vcc, 0, v7
	v_cndmask_b32_e64 v7, v13, v11, s[0:1]
	v_cndmask_b32_e32 v47, v9, v10, vcc
	v_cndmask_b32_e32 v46, v4, v7, vcc
.LBB0_4:                                ;   in Loop: Header=BB0_2 Depth=1
	s_andn2_saveexec_b64 s[0:1], s[26:27]
	s_cbranch_execz .LBB0_6
; %bb.5:                                ;   in Loop: Header=BB0_2 Depth=1
	v_cvt_f32_u32_e32 v4, s24
	s_sub_i32 s26, 0, s24
	v_mov_b32_e32 v47, v3
	v_rcp_iflag_f32_e32 v4, v4
	v_mul_f32_e32 v4, 0x4f7ffffe, v4
	v_cvt_u32_f32_e32 v4, v4
	v_mul_lo_u32 v7, s26, v4
	v_mul_hi_u32 v7, v4, v7
	v_add_u32_e32 v4, v4, v7
	v_mul_hi_u32 v4, v5, v4
	v_mul_lo_u32 v7, v4, s24
	v_add_u32_e32 v8, 1, v4
	v_sub_u32_e32 v7, v5, v7
	v_subrev_u32_e32 v9, s24, v7
	v_cmp_le_u32_e32 vcc, s24, v7
	v_cndmask_b32_e32 v7, v7, v9, vcc
	v_cndmask_b32_e32 v4, v4, v8, vcc
	v_add_u32_e32 v8, 1, v4
	v_cmp_le_u32_e32 vcc, s24, v7
	v_cndmask_b32_e32 v46, v4, v8, vcc
.LBB0_6:                                ;   in Loop: Header=BB0_2 Depth=1
	s_or_b64 exec, exec, s[0:1]
	v_mul_lo_u32 v4, v47, s24
	v_mul_lo_u32 v9, v46, s25
	v_mad_u64_u32 v[7:8], s[0:1], v46, s24, 0
	s_load_dwordx2 s[0:1], s[6:7], 0x0
	s_load_dwordx2 s[24:25], s[2:3], 0x0
	v_add3_u32 v4, v8, v9, v4
	v_sub_co_u32_e32 v5, vcc, v5, v7
	v_subb_co_u32_e32 v4, vcc, v6, v4, vcc
	s_waitcnt lgkmcnt(0)
	v_mul_lo_u32 v6, s0, v4
	v_mul_lo_u32 v7, s1, v5
	v_mad_u64_u32 v[1:2], s[0:1], s0, v5, v[1:2]
	v_mul_lo_u32 v4, s24, v4
	v_mul_lo_u32 v8, s25, v5
	v_mad_u64_u32 v[44:45], s[0:1], s24, v5, v[44:45]
	s_add_u32 s22, s22, 1
	s_addc_u32 s23, s23, 0
	s_add_u32 s2, s2, 8
	v_add3_u32 v45, v8, v45, v4
	s_addc_u32 s3, s3, 0
	v_mov_b32_e32 v4, s14
	s_add_u32 s6, s6, 8
	v_mov_b32_e32 v5, s15
	s_addc_u32 s7, s7, 0
	v_cmp_ge_u64_e32 vcc, s[22:23], v[4:5]
	s_add_u32 s20, s20, 8
	v_add3_u32 v2, v7, v2, v6
	s_addc_u32 s21, s21, 0
	s_cbranch_vccnz .LBB0_9
; %bb.7:                                ;   in Loop: Header=BB0_2 Depth=1
	v_mov_b32_e32 v5, v46
	v_mov_b32_e32 v6, v47
	s_branch .LBB0_2
.LBB0_8:
	v_mov_b32_e32 v45, v2
	v_mov_b32_e32 v47, v6
	;; [unrolled: 1-line block ×4, first 2 shown]
.LBB0_9:
	s_load_dwordx2 s[4:5], s[4:5], 0x28
	s_lshl_b64 s[6:7], s[14:15], 3
	s_add_u32 s2, s18, s6
	s_addc_u32 s3, s19, s7
                                        ; implicit-def: $vgpr48
                                        ; implicit-def: $vgpr50
                                        ; implicit-def: $vgpr52
	s_waitcnt lgkmcnt(0)
	v_cmp_gt_u64_e64 s[0:1], s[4:5], v[46:47]
	v_cmp_le_u64_e32 vcc, s[4:5], v[46:47]
	s_and_saveexec_b64 s[4:5], vcc
	s_xor_b64 s[4:5], exec, s[4:5]
; %bb.10:
	s_mov_b32 s14, 0x11bb4a5
	v_mul_hi_u32 v1, v0, s14
	v_mul_u32_u24_e32 v1, 0xe7, v1
	v_sub_u32_e32 v48, v0, v1
	v_add_u32_e32 v50, 0xe7, v48
	v_add_u32_e32 v52, 0x1ce, v48
                                        ; implicit-def: $vgpr0
                                        ; implicit-def: $vgpr1_vgpr2
; %bb.11:
	s_andn2_saveexec_b64 s[4:5], s[4:5]
	s_cbranch_execz .LBB0_13
; %bb.12:
	s_add_u32 s6, s16, s6
	s_addc_u32 s7, s17, s7
	s_load_dwordx2 s[6:7], s[6:7], 0x0
	s_mov_b32 s14, 0x11bb4a5
	v_mul_hi_u32 v5, v0, s14
	s_waitcnt lgkmcnt(0)
	v_mul_lo_u32 v6, s7, v46
	v_mul_lo_u32 v7, s6, v47
	v_mad_u64_u32 v[3:4], s[6:7], s6, v46, 0
	v_mul_u32_u24_e32 v5, 0xe7, v5
	v_sub_u32_e32 v48, v0, v5
	v_add3_u32 v4, v4, v7, v6
	v_lshlrev_b64 v[3:4], 4, v[3:4]
	v_mov_b32_e32 v0, s9
	v_add_co_u32_e32 v3, vcc, s8, v3
	v_addc_co_u32_e32 v4, vcc, v0, v4, vcc
	v_lshlrev_b64 v[0:1], 4, v[1:2]
	v_lshlrev_b32_e32 v28, 4, v48
	v_add_co_u32_e32 v0, vcc, v3, v0
	v_addc_co_u32_e32 v1, vcc, v4, v1, vcc
	v_add_co_u32_e32 v16, vcc, v0, v28
	v_addc_co_u32_e32 v17, vcc, 0, v1, vcc
	s_movk_i32 s6, 0x1000
	v_add_co_u32_e32 v18, vcc, s6, v16
	v_addc_co_u32_e32 v19, vcc, 0, v17, vcc
	s_movk_i32 s6, 0x2000
	v_add_co_u32_e32 v20, vcc, s6, v16
	v_addc_co_u32_e32 v21, vcc, 0, v17, vcc
	v_add_co_u32_e32 v24, vcc, 0x3000, v16
	v_addc_co_u32_e32 v25, vcc, 0, v17, vcc
	v_add_co_u32_e32 v26, vcc, 0x4000, v16
	global_load_dwordx4 v[0:3], v[16:17], off
	global_load_dwordx4 v[4:7], v[16:17], off offset:3696
	global_load_dwordx4 v[8:11], v[18:19], off offset:3296
	;; [unrolled: 1-line block ×3, first 2 shown]
	v_addc_co_u32_e32 v27, vcc, 0, v17, vcc
	global_load_dwordx4 v[16:19], v[24:25], off offset:2496
	global_load_dwordx4 v[20:23], v[26:27], off offset:2096
	v_add_u32_e32 v50, 0xe7, v48
	v_add_u32_e32 v24, 0, v28
	;; [unrolled: 1-line block ×3, first 2 shown]
	s_waitcnt vmcnt(5)
	ds_write_b128 v24, v[0:3]
	s_waitcnt vmcnt(4)
	ds_write_b128 v24, v[4:7] offset:3696
	s_waitcnt vmcnt(3)
	ds_write_b128 v24, v[8:11] offset:7392
	;; [unrolled: 2-line block ×5, first 2 shown]
.LBB0_13:
	s_or_b64 exec, exec, s[4:5]
	v_lshlrev_b32_e32 v49, 4, v48
	v_add_u32_e32 v98, 0, v49
	s_load_dwordx2 s[2:3], s[2:3], 0x0
	s_waitcnt lgkmcnt(0)
	s_barrier
	ds_read_b128 v[0:3], v98 offset:11088
	ds_read_b128 v[12:15], v98
	ds_read_b128 v[16:19], v98 offset:3696
	ds_read_b128 v[8:11], v98 offset:14784
	;; [unrolled: 1-line block ×4, first 2 shown]
	s_waitcnt lgkmcnt(4)
	v_add_f64 v[4:5], v[12:13], -v[0:1]
	v_add_f64 v[6:7], v[14:15], -v[2:3]
	s_waitcnt lgkmcnt(2)
	v_add_f64 v[8:9], v[16:17], -v[8:9]
	v_add_f64 v[10:11], v[18:19], -v[10:11]
	;; [unrolled: 3-line block ×3, first 2 shown]
	s_movk_i32 s4, 0xc6
	v_fma_f64 v[0:1], v[12:13], 2.0, -v[4:5]
	v_fma_f64 v[2:3], v[14:15], 2.0, -v[6:7]
	;; [unrolled: 1-line block ×6, first 2 shown]
	v_add_u32_e32 v24, v98, v49
	s_barrier
	ds_write_b128 v24, v[0:3]
	ds_write_b128 v24, v[4:7] offset:16
	v_lshl_add_u32 v24, v50, 5, 0
	v_lshl_add_u32 v51, v52, 5, 0
	v_cmp_gt_u32_e32 vcc, s4, v48
	ds_write_b128 v24, v[12:15]
	ds_write_b128 v24, v[8:11] offset:16
	ds_write_b128 v51, v[16:19]
	ds_write_b128 v51, v[20:23] offset:16
	s_waitcnt lgkmcnt(0)
	s_barrier
	s_waitcnt lgkmcnt(0)
                                        ; implicit-def: $vgpr26_vgpr27
	s_and_saveexec_b64 s[4:5], vcc
	s_cbranch_execz .LBB0_15
; %bb.14:
	ds_read_b128 v[0:3], v98
	ds_read_b128 v[4:7], v98 offset:3168
	ds_read_b128 v[12:15], v98 offset:6336
	;; [unrolled: 1-line block ×6, first 2 shown]
.LBB0_15:
	s_or_b64 exec, exec, s[4:5]
	v_and_b32_e32 v65, 1, v48
	v_mul_u32_u24_e32 v28, 6, v65
	v_lshlrev_b32_e32 v61, 4, v28
	global_load_dwordx4 v[28:31], v61, s[12:13]
	global_load_dwordx4 v[32:35], v61, s[12:13] offset:16
	global_load_dwordx4 v[36:39], v61, s[12:13] offset:32
	;; [unrolled: 1-line block ×5, first 2 shown]
	s_mov_b32 s4, 0x37e14327
	s_mov_b32 s14, 0xb247c609
	;; [unrolled: 1-line block ×10, first 2 shown]
	s_waitcnt vmcnt(0) lgkmcnt(0)
	s_barrier
	v_mul_f64 v[61:62], v[6:7], v[30:31]
	v_mul_f64 v[30:31], v[4:5], v[30:31]
	;; [unrolled: 1-line block ×12, first 2 shown]
	v_fma_f64 v[4:5], v[4:5], v[28:29], v[61:62]
	v_fma_f64 v[6:7], v[6:7], v[28:29], -v[30:31]
	v_fma_f64 v[28:29], v[12:13], v[32:33], v[63:64]
	v_fma_f64 v[14:15], v[14:15], v[32:33], -v[34:35]
	;; [unrolled: 2-line block ×3, first 2 shown]
	v_fma_f64 v[12:13], v[24:25], v[57:58], v[72:73]
	v_fma_f64 v[20:21], v[20:21], v[53:54], v[70:71]
	v_fma_f64 v[36:37], v[26:27], v[57:58], -v[59:60]
	v_fma_f64 v[22:23], v[22:23], v[53:54], -v[55:56]
	v_fma_f64 v[16:17], v[16:17], v[40:41], v[68:69]
	v_fma_f64 v[18:19], v[18:19], v[40:41], -v[42:43]
	v_add_f64 v[8:9], v[4:5], v[12:13]
	v_add_f64 v[10:11], v[28:29], v[20:21]
	v_add_f64 v[24:25], v[6:7], v[36:37]
	v_add_f64 v[26:27], v[14:15], v[22:23]
	v_add_f64 v[40:41], v[30:31], v[16:17]
	v_add_f64 v[42:43], v[32:33], v[18:19]
	v_add_f64 v[34:35], v[4:5], -v[12:13]
	v_add_f64 v[12:13], v[6:7], -v[36:37]
	;; [unrolled: 1-line block ×5, first 2 shown]
	v_add_f64 v[16:17], v[10:11], v[8:9]
	v_add_f64 v[18:19], v[26:27], v[24:25]
	v_add_f64 v[14:15], v[14:15], -v[22:23]
	v_add_f64 v[20:21], v[8:9], -v[40:41]
	;; [unrolled: 1-line block ×6, first 2 shown]
	v_add_f64 v[32:33], v[4:5], v[38:39]
	v_add_f64 v[57:58], v[4:5], -v[38:39]
	v_add_f64 v[4:5], v[40:41], v[16:17]
	v_add_f64 v[16:17], v[42:43], v[18:19]
	v_add_f64 v[55:56], v[42:43], -v[26:27]
	v_add_f64 v[18:19], v[6:7], v[14:15]
	v_add_f64 v[59:60], v[6:7], -v[14:15]
	v_mul_f64 v[28:29], v[28:29], s[14:15]
	v_mul_f64 v[30:31], v[30:31], s[14:15]
	;; [unrolled: 1-line block ×4, first 2 shown]
	v_add_f64 v[0:1], v[0:1], v[4:5]
	v_add_f64 v[2:3], v[2:3], v[16:17]
	v_add_f64 v[61:62], v[32:33], v[34:35]
	v_add_f64 v[63:64], v[18:19], v[12:13]
	v_fma_f64 v[6:7], v[57:58], s[8:9], v[28:29]
	v_fma_f64 v[18:19], v[59:60], s[8:9], v[30:31]
	;; [unrolled: 1-line block ×6, first 2 shown]
	s_mov_b32 s14, 0x37c3f68c
	s_mov_b32 s15, 0xbfdc38aa
	v_fma_f64 v[20:21], v[61:62], s[14:15], v[6:7]
	v_fma_f64 v[16:17], v[63:64], s[14:15], v[18:19]
	v_add_f64 v[18:19], v[22:23], v[32:33]
	v_add_f64 v[22:23], v[66:67], v[42:43]
	v_add_f64 v[4:5], v[18:19], -v[16:17]
	v_add_f64 v[6:7], v[20:21], v[22:23]
	s_and_saveexec_b64 s[4:5], vcc
	s_cbranch_execz .LBB0_17
; %bb.16:
	v_add_f64 v[34:35], v[38:39], -v[34:35]
	v_add_f64 v[24:25], v[26:27], -v[24:25]
	;; [unrolled: 1-line block ×4, first 2 shown]
	v_mul_f64 v[55:56], v[55:56], s[6:7]
	v_mul_f64 v[38:39], v[57:58], s[8:9]
	;; [unrolled: 1-line block ×4, first 2 shown]
	s_mov_b32 s7, 0x3febfeb5
	s_mov_b32 s6, 0x429ad128
	s_mov_b32 s9, 0xbfe77f67
	s_mov_b32 s8, 0x5476071b
	v_fma_f64 v[12:13], v[34:35], s[6:7], -v[28:29]
	v_fma_f64 v[14:15], v[24:25], s[8:9], -v[40:41]
	;; [unrolled: 1-line block ×4, first 2 shown]
	s_mov_b32 s9, 0x3fe77f67
	s_mov_b32 s7, 0xbfebfeb5
	v_mul_f64 v[61:62], v[61:62], s[14:15]
	v_mul_f64 v[63:64], v[63:64], s[14:15]
	v_fma_f64 v[24:25], v[24:25], s[8:9], -v[55:56]
	v_fma_f64 v[30:31], v[34:35], s[6:7], -v[38:39]
	;; [unrolled: 1-line block ×4, first 2 shown]
	v_add_f64 v[36:37], v[14:15], v[42:43]
	v_add_f64 v[26:27], v[26:27], v[32:33]
	;; [unrolled: 1-line block ×8, first 2 shown]
	v_add_f64 v[20:21], v[22:23], -v[20:21]
	v_add_f64 v[18:19], v[16:17], v[18:19]
	v_lshrrev_b32_e32 v16, 1, v48
	v_add_f64 v[8:9], v[26:27], -v[38:39]
	v_add_f64 v[26:27], v[38:39], v[26:27]
	v_add_f64 v[14:15], v[24:25], -v[28:29]
	v_add_f64 v[24:25], v[28:29], v[24:25]
	v_add_f64 v[28:29], v[36:37], -v[34:35]
	v_add_f64 v[22:23], v[32:33], -v[30:31]
	v_add_f64 v[12:13], v[30:31], v[32:33]
	v_add_f64 v[10:11], v[34:35], v[36:37]
	v_mul_u32_u24_e32 v16, 14, v16
	v_or_b32_e32 v16, v16, v65
	v_lshl_add_u32 v16, v16, 4, 0
	ds_write_b128 v16, v[0:3]
	ds_write_b128 v16, v[18:21] offset:32
	ds_write_b128 v16, v[26:29] offset:64
	;; [unrolled: 1-line block ×6, first 2 shown]
.LBB0_17:
	s_or_b64 exec, exec, s[4:5]
	v_lshrrev_b16_e32 v0, 1, v48
	v_and_b32_e32 v54, 0x7f, v0
	v_mul_lo_u16_e32 v0, 0x93, v54
	v_lshrrev_b16_e32 v53, 10, v0
	v_lshrrev_b16_e32 v0, 1, v50
	v_mul_u32_u24_e32 v0, 0x4925, v0
	v_lshrrev_b32_e32 v56, 17, v0
	v_mul_lo_u16_e32 v12, 14, v53
	v_mul_lo_u16_e32 v0, 14, v56
	v_sub_u16_e32 v57, v50, v0
	v_sub_u16_e32 v58, v48, v12
	v_mov_b32_e32 v12, 5
	v_lshlrev_b32_e32 v13, 5, v57
	v_lshlrev_b32_sdwa v20, v12, v58 dst_sel:DWORD dst_unused:UNUSED_PAD src0_sel:DWORD src1_sel:BYTE_0
	s_waitcnt lgkmcnt(0)
	s_barrier
	global_load_dwordx4 v[0:3], v13, s[12:13] offset:208
	global_load_dwordx4 v[8:11], v13, s[12:13] offset:192
	s_nop 0
	global_load_dwordx4 v[12:15], v20, s[12:13] offset:192
	global_load_dwordx4 v[16:19], v20, s[12:13] offset:208
	v_lshlrev_b32_e32 v55, 4, v52
	ds_read_b128 v[20:23], v98
	ds_read_b128 v[24:27], v98 offset:11088
	ds_read_b128 v[28:31], v98 offset:14784
	;; [unrolled: 1-line block ×3, first 2 shown]
	v_sub_u32_e32 v36, v51, v55
	v_lshl_add_u32 v99, v50, 4, 0
	ds_read_b128 v[36:39], v36
	ds_read_b128 v[40:43], v99
	v_mov_b32_e32 v59, 4
	v_mul_u32_u24_e32 v56, 0x2a0, v56
	v_lshlrev_b32_e32 v57, 4, v57
	v_lshlrev_b32_sdwa v64, v59, v58 dst_sel:DWORD dst_unused:UNUSED_PAD src0_sel:DWORD src1_sel:BYTE_0
	v_add3_u32 v65, 0, v56, v57
	s_mov_b32 s4, 0xe8584caa
	s_mov_b32 s5, 0xbfebb67a
	;; [unrolled: 1-line block ×4, first 2 shown]
	s_movk_i32 s8, 0x7e
	v_mul_u32_u24_e32 v53, 0x2a0, v53
	v_cmp_gt_u32_e32 vcc, s8, v48
	s_waitcnt vmcnt(0) lgkmcnt(0)
	s_barrier
	v_mul_f64 v[58:59], v[34:35], v[2:3]
	v_mul_f64 v[56:57], v[26:27], v[10:11]
	;; [unrolled: 1-line block ×8, first 2 shown]
	v_fma_f64 v[24:25], v[24:25], v[8:9], v[56:57]
	v_fma_f64 v[8:9], v[26:27], v[8:9], -v[10:11]
	v_fma_f64 v[10:11], v[32:33], v[0:1], v[58:59]
	v_fma_f64 v[0:1], v[34:35], v[0:1], -v[2:3]
	v_fma_f64 v[2:3], v[36:37], v[12:13], v[60:61]
	v_fma_f64 v[26:27], v[28:29], v[16:17], v[62:63]
	v_fma_f64 v[12:13], v[38:39], v[12:13], -v[14:15]
	v_fma_f64 v[16:17], v[30:31], v[16:17], -v[18:19]
	v_add_f64 v[14:15], v[40:41], v[24:25]
	v_add_f64 v[30:31], v[42:43], v[8:9]
	;; [unrolled: 1-line block ×3, first 2 shown]
	v_add_f64 v[28:29], v[8:9], -v[0:1]
	v_add_f64 v[8:9], v[8:9], v[0:1]
	v_add_f64 v[32:33], v[2:3], v[26:27]
	v_add_f64 v[34:35], v[24:25], -v[10:11]
	v_add_f64 v[24:25], v[12:13], v[16:17]
	v_add_f64 v[36:37], v[20:21], v[2:3]
	v_add_f64 v[38:39], v[12:13], -v[16:17]
	v_add_f64 v[56:57], v[22:23], v[12:13]
	v_add_f64 v[58:59], v[2:3], -v[26:27]
	v_fma_f64 v[40:41], v[18:19], -0.5, v[40:41]
	v_fma_f64 v[18:19], v[32:33], -0.5, v[20:21]
	v_add_f64 v[12:13], v[14:15], v[10:11]
	v_fma_f64 v[22:23], v[24:25], -0.5, v[22:23]
	v_add_f64 v[14:15], v[30:31], v[0:1]
	v_fma_f64 v[30:31], v[8:9], -0.5, v[42:43]
	v_add_f64 v[0:1], v[36:37], v[26:27]
	v_add_f64 v[2:3], v[56:57], v[16:17]
	v_fma_f64 v[20:21], v[28:29], s[4:5], v[40:41]
	v_fma_f64 v[8:9], v[38:39], s[4:5], v[18:19]
	;; [unrolled: 1-line block ×8, first 2 shown]
	v_add3_u32 v28, 0, v53, v64
	ds_write_b128 v28, v[0:3]
	ds_write_b128 v28, v[8:11] offset:224
	ds_write_b128 v28, v[16:19] offset:448
	ds_write_b128 v65, v[12:15]
	ds_write_b128 v65, v[20:23] offset:224
	ds_write_b128 v65, v[24:27] offset:448
	s_waitcnt lgkmcnt(0)
	s_barrier
	s_waitcnt lgkmcnt(0)
                                        ; implicit-def: $vgpr42_vgpr43
                                        ; implicit-def: $vgpr38_vgpr39
                                        ; implicit-def: $vgpr34_vgpr35
                                        ; implicit-def: $vgpr30_vgpr31
	s_and_saveexec_b64 s[4:5], vcc
	s_cbranch_execz .LBB0_19
; %bb.18:
	ds_read_b128 v[0:3], v98
	ds_read_b128 v[8:11], v98 offset:2016
	ds_read_b128 v[16:19], v98 offset:4032
	;; [unrolled: 1-line block ×10, first 2 shown]
.LBB0_19:
	s_or_b64 exec, exec, s[4:5]
	v_lshlrev_b32_e32 v53, 1, v50
	v_sub_u32_e32 v100, 0, v55
	s_waitcnt lgkmcnt(0)
	s_barrier
	s_and_saveexec_b64 s[4:5], vcc
	s_cbranch_execz .LBB0_21
; %bb.20:
	v_mul_lo_u16_e32 v54, 49, v54
	v_lshrrev_b16_e32 v101, 10, v54
	v_mul_lo_u16_e32 v54, 42, v101
	v_sub_u16_e32 v102, v48, v54
	v_mov_b32_e32 v54, 10
	v_mul_u32_u24_sdwa v54, v102, v54 dst_sel:DWORD dst_unused:UNUSED_PAD src0_sel:BYTE_0 src1_sel:DWORD
	v_lshlrev_b32_e32 v58, 4, v54
	global_load_dwordx4 v[54:57], v58, s[12:13] offset:704
	global_load_dwordx4 v[60:63], v58, s[12:13] offset:720
	;; [unrolled: 1-line block ×10, first 2 shown]
	s_mov_b32 s8, 0xfd768dbf
	s_mov_b32 s9, 0xbfd207e7
	;; [unrolled: 1-line block ×26, first 2 shown]
	s_waitcnt vmcnt(9)
	v_mul_f64 v[58:59], v[26:27], v[56:57]
	s_waitcnt vmcnt(8)
	v_mul_f64 v[78:79], v[6:7], v[62:63]
	v_mul_f64 v[68:69], v[24:25], v[56:57]
	s_waitcnt vmcnt(6)
	v_mul_f64 v[107:108], v[18:19], v[72:73]
	;; [unrolled: 3-line block ×4, first 2 shown]
	v_mul_f64 v[113:114], v[40:41], v[82:83]
	v_mul_f64 v[62:63], v[4:5], v[62:63]
	;; [unrolled: 1-line block ×4, first 2 shown]
	s_waitcnt vmcnt(3)
	v_mul_f64 v[115:116], v[38:39], v[86:87]
	s_waitcnt vmcnt(2)
	v_mul_f64 v[117:118], v[30:31], v[90:91]
	v_mul_f64 v[119:120], v[36:37], v[86:87]
	v_mul_f64 v[121:122], v[28:29], v[90:91]
	v_fma_f64 v[56:57], v[24:25], v[54:55], v[58:59]
	v_fma_f64 v[24:25], v[4:5], v[60:61], v[78:79]
	;; [unrolled: 1-line block ×3, first 2 shown]
	v_fma_f64 v[82:83], v[18:19], v[70:71], -v[72:73]
	v_fma_f64 v[86:87], v[8:9], v[74:75], v[109:110]
	v_fma_f64 v[90:91], v[10:11], v[74:75], -v[76:77]
	v_fma_f64 v[16:17], v[40:41], v[80:81], v[111:112]
	v_fma_f64 v[18:19], v[42:43], v[80:81], -v[113:114]
	s_waitcnt vmcnt(1)
	v_mul_f64 v[123:124], v[14:15], v[94:95]
	s_waitcnt vmcnt(0)
	v_mul_f64 v[125:126], v[34:35], v[105:106]
	v_mul_f64 v[94:95], v[12:13], v[94:95]
	;; [unrolled: 1-line block ×3, first 2 shown]
	v_fma_f64 v[58:59], v[26:27], v[54:55], -v[68:69]
	v_fma_f64 v[54:55], v[6:7], v[60:61], -v[62:63]
	v_fma_f64 v[60:61], v[20:21], v[64:65], v[96:97]
	v_fma_f64 v[68:69], v[22:23], v[64:65], -v[66:67]
	v_fma_f64 v[20:21], v[36:37], v[84:85], v[115:116]
	v_fma_f64 v[22:23], v[38:39], v[84:85], -v[119:120]
	v_add_f64 v[115:116], v[86:87], -v[16:17]
	v_add_f64 v[119:120], v[90:91], -v[18:19]
	v_fma_f64 v[76:77], v[12:13], v[92:93], v[123:124]
	v_fma_f64 v[80:81], v[14:15], v[92:93], -v[94:95]
	v_fma_f64 v[12:13], v[32:33], v[103:104], v[125:126]
	v_fma_f64 v[14:15], v[34:35], v[103:104], -v[105:106]
	v_add_f64 v[92:93], v[78:79], -v[20:21]
	v_add_f64 v[96:97], v[90:91], v[18:19]
	v_add_f64 v[74:75], v[82:83], -v[22:23]
	v_add_f64 v[94:95], v[86:87], v[16:17]
	v_mul_f64 v[4:5], v[115:116], s[8:9]
	v_mul_f64 v[6:7], v[119:120], s[8:9]
	v_fma_f64 v[26:27], v[28:29], v[88:89], v[117:118]
	v_fma_f64 v[28:29], v[30:31], v[88:89], -v[121:122]
	v_add_f64 v[72:73], v[82:83], v[22:23]
	v_add_f64 v[64:65], v[78:79], v[20:21]
	v_add_f64 v[88:89], v[76:77], -v[12:13]
	v_add_f64 v[70:71], v[80:81], -v[14:15]
	v_mul_f64 v[8:9], v[92:93], s[28:29]
	v_mul_f64 v[10:11], v[74:75], s[28:29]
	v_fma_f64 v[129:130], v[96:97], s[6:7], v[4:5]
	v_fma_f64 v[131:132], v[94:95], s[6:7], -v[6:7]
	v_fma_f64 v[4:5], v[96:97], s[6:7], -v[4:5]
	v_add_f64 v[66:67], v[80:81], v[14:15]
	v_add_f64 v[62:63], v[76:77], v[12:13]
	v_add_f64 v[84:85], v[60:61], -v[26:27]
	v_mul_f64 v[103:104], v[88:89], s[18:19]
	v_mul_f64 v[105:106], v[70:71], s[18:19]
	v_fma_f64 v[133:134], v[72:73], s[14:15], v[8:9]
	v_fma_f64 v[6:7], v[94:95], s[6:7], v[6:7]
	v_fma_f64 v[135:136], v[64:65], s[14:15], -v[10:11]
	v_fma_f64 v[8:9], v[72:73], s[14:15], -v[8:9]
	v_add_f64 v[129:130], v[2:3], v[129:130]
	v_add_f64 v[131:132], v[0:1], v[131:132]
	;; [unrolled: 1-line block ×4, first 2 shown]
	v_add_f64 v[36:37], v[68:69], -v[28:29]
	v_add_f64 v[40:41], v[56:57], -v[24:25]
	v_mul_f64 v[107:108], v[84:85], s[26:27]
	v_mul_f64 v[125:126], v[119:120], s[18:19]
	v_fma_f64 v[10:11], v[64:65], s[14:15], v[10:11]
	v_fma_f64 v[141:142], v[66:67], s[16:17], v[103:104]
	v_fma_f64 v[143:144], v[62:63], s[16:17], -v[105:106]
	v_fma_f64 v[103:104], v[66:67], s[16:17], -v[103:104]
	v_add_f64 v[6:7], v[0:1], v[6:7]
	v_add_f64 v[129:130], v[133:134], v[129:130]
	;; [unrolled: 1-line block ×6, first 2 shown]
	v_add_f64 v[38:39], v[58:59], -v[54:55]
	v_mul_f64 v[109:110], v[115:116], s[18:19]
	v_mul_f64 v[113:114], v[36:37], s[26:27]
	;; [unrolled: 1-line block ×4, first 2 shown]
	v_fma_f64 v[105:106], v[62:63], s[16:17], v[105:106]
	v_fma_f64 v[133:134], v[42:43], s[20:21], v[107:108]
	v_fma_f64 v[107:108], v[42:43], s[20:21], -v[107:108]
	v_add_f64 v[6:7], v[10:11], v[6:7]
	v_add_f64 v[10:11], v[141:142], v[129:130]
	;; [unrolled: 1-line block ×4, first 2 shown]
	v_fma_f64 v[131:132], v[94:95], s[16:17], -v[125:126]
	v_add_f64 v[30:31], v[56:57], v[24:25]
	v_mul_f64 v[111:112], v[92:93], s[34:35]
	v_mul_f64 v[121:122], v[38:39], s[24:25]
	v_fma_f64 v[137:138], v[96:97], s[16:17], v[109:110]
	v_fma_f64 v[8:9], v[34:35], s[20:21], -v[113:114]
	v_fma_f64 v[113:114], v[34:35], s[20:21], v[113:114]
	v_fma_f64 v[103:104], v[32:33], s[22:23], v[117:118]
	v_add_f64 v[6:7], v[105:106], v[6:7]
	v_add_f64 v[10:11], v[133:134], v[10:11]
	;; [unrolled: 1-line block ×4, first 2 shown]
	v_fma_f64 v[131:132], v[64:65], s[22:23], -v[127:128]
	v_mul_f64 v[133:134], v[70:71], s[30:31]
	v_mul_f64 v[123:124], v[88:89], s[30:31]
	v_fma_f64 v[139:140], v[72:73], s[22:23], v[111:112]
	v_add_f64 v[135:136], v[2:3], v[137:138]
	v_add_f64 v[8:9], v[8:9], v[129:130]
	v_fma_f64 v[105:106], v[30:31], s[22:23], -v[121:122]
	v_add_f64 v[113:114], v[113:114], v[6:7]
	v_add_f64 v[6:7], v[103:104], v[10:11]
	v_fma_f64 v[10:11], v[96:97], s[16:17], -v[109:110]
	v_add_f64 v[103:104], v[131:132], v[4:5]
	v_fma_f64 v[109:110], v[62:63], s[14:15], -v[133:134]
	v_mul_f64 v[131:132], v[36:37], s[8:9]
	v_add_f64 v[135:136], v[139:140], v[135:136]
	v_mul_f64 v[129:130], v[84:85], s[8:9]
	v_fma_f64 v[117:118], v[32:33], s[22:23], -v[117:118]
	v_fma_f64 v[121:122], v[30:31], s[22:23], v[121:122]
	v_fma_f64 v[137:138], v[66:67], s[14:15], v[123:124]
	v_add_f64 v[4:5], v[105:106], v[8:9]
	v_fma_f64 v[8:9], v[94:95], s[16:17], v[125:126]
	v_fma_f64 v[111:112], v[72:73], s[22:23], -v[111:112]
	v_add_f64 v[125:126], v[2:3], v[10:11]
	v_add_f64 v[103:104], v[109:110], v[103:104]
	v_fma_f64 v[109:110], v[34:35], s[6:7], -v[131:132]
	v_add_f64 v[10:11], v[117:118], v[107:108]
	v_add_f64 v[105:106], v[137:138], v[135:136]
	v_fma_f64 v[135:136], v[42:43], s[6:7], v[129:130]
	v_fma_f64 v[107:108], v[64:65], s[22:23], v[127:128]
	v_add_f64 v[117:118], v[0:1], v[8:9]
	v_add_f64 v[8:9], v[121:122], v[113:114]
	;; [unrolled: 1-line block ×3, first 2 shown]
	v_fma_f64 v[113:114], v[66:67], s[14:15], -v[123:124]
	v_add_f64 v[103:104], v[109:110], v[103:104]
	v_mul_f64 v[109:110], v[40:41], s[26:27]
	v_mul_f64 v[121:122], v[115:116], s[24:25]
	;; [unrolled: 1-line block ×3, first 2 shown]
	v_add_f64 v[105:106], v[135:136], v[105:106]
	v_add_f64 v[107:108], v[107:108], v[117:118]
	v_fma_f64 v[117:118], v[62:63], s[14:15], v[133:134]
	v_add_f64 v[111:112], v[113:114], v[111:112]
	v_mul_f64 v[127:128], v[92:93], s[36:37]
	v_fma_f64 v[133:134], v[32:33], s[20:21], v[109:110]
	v_fma_f64 v[113:114], v[96:97], s[22:23], v[121:122]
	v_fma_f64 v[135:136], v[94:95], s[22:23], -v[125:126]
	v_mul_f64 v[137:138], v[74:75], s[36:37]
	v_mul_f64 v[123:124], v[38:39], s[26:27]
	v_add_f64 v[107:108], v[117:118], v[107:108]
	v_fma_f64 v[129:130], v[42:43], s[6:7], -v[129:130]
	v_fma_f64 v[139:140], v[72:73], s[6:7], v[127:128]
	v_mul_f64 v[141:142], v[88:89], s[26:27]
	v_add_f64 v[113:114], v[2:3], v[113:114]
	v_fma_f64 v[131:132], v[34:35], s[6:7], v[131:132]
	v_add_f64 v[105:106], v[133:134], v[105:106]
	v_add_f64 v[133:134], v[0:1], v[135:136]
	v_fma_f64 v[135:136], v[64:65], s[6:7], -v[137:138]
	v_mul_f64 v[143:144], v[70:71], s[26:27]
	v_fma_f64 v[117:118], v[30:31], s[20:21], -v[123:124]
	v_add_f64 v[111:112], v[129:130], v[111:112]
	v_add_f64 v[113:114], v[139:140], v[113:114]
	v_fma_f64 v[129:130], v[66:67], s[20:21], v[141:142]
	v_mul_f64 v[139:140], v[84:85], s[30:31]
	v_add_f64 v[107:108], v[131:132], v[107:108]
	v_fma_f64 v[109:110], v[32:33], s[20:21], -v[109:110]
	v_add_f64 v[131:132], v[135:136], v[133:134]
	v_fma_f64 v[133:134], v[62:63], s[20:21], -v[143:144]
	v_mul_f64 v[135:136], v[36:37], s[30:31]
	v_fma_f64 v[123:124], v[30:31], s[20:21], v[123:124]
	v_add_f64 v[113:114], v[129:130], v[113:114]
	v_fma_f64 v[129:130], v[42:43], s[14:15], v[139:140]
	v_add_f64 v[103:104], v[117:118], v[103:104]
	v_mul_f64 v[117:118], v[40:41], s[18:19]
	v_add_f64 v[109:110], v[109:110], v[111:112]
	v_add_f64 v[111:112], v[133:134], v[131:132]
	v_fma_f64 v[131:132], v[34:35], s[14:15], -v[135:136]
	v_mul_f64 v[133:134], v[38:39], s[18:19]
	s_mov_b32 s27, 0xbfed1bb4
	v_add_f64 v[107:108], v[123:124], v[107:108]
	v_add_f64 v[113:114], v[129:130], v[113:114]
	v_fma_f64 v[121:122], v[96:97], s[22:23], -v[121:122]
	v_fma_f64 v[123:124], v[32:33], s[16:17], v[117:118]
	v_mul_f64 v[129:130], v[115:116], s[26:27]
	v_add_f64 v[111:112], v[131:132], v[111:112]
	v_fma_f64 v[131:132], v[30:31], s[16:17], -v[133:134]
	v_mul_f64 v[145:146], v[119:120], s[26:27]
	v_fma_f64 v[127:128], v[72:73], s[6:7], -v[127:128]
	v_mul_f64 v[147:148], v[92:93], s[18:19]
	v_add_f64 v[121:122], v[2:3], v[121:122]
	v_add_f64 v[113:114], v[123:124], v[113:114]
	v_fma_f64 v[123:124], v[94:95], s[22:23], v[125:126]
	v_fma_f64 v[125:126], v[96:97], s[20:21], v[129:130]
	v_add_f64 v[111:112], v[131:132], v[111:112]
	v_fma_f64 v[131:132], v[94:95], s[20:21], -v[145:146]
	v_mul_f64 v[149:150], v[74:75], s[18:19]
	v_add_f64 v[90:91], v[2:3], v[90:91]
	v_add_f64 v[86:87], v[0:1], v[86:87]
	;; [unrolled: 1-line block ×3, first 2 shown]
	v_fma_f64 v[127:128], v[64:65], s[6:7], v[137:138]
	v_add_f64 v[123:124], v[0:1], v[123:124]
	v_add_f64 v[125:126], v[2:3], v[125:126]
	v_fma_f64 v[137:138], v[72:73], s[16:17], v[147:148]
	v_mul_f64 v[151:152], v[88:89], s[36:37]
	v_add_f64 v[131:132], v[0:1], v[131:132]
	v_fma_f64 v[153:154], v[64:65], s[16:17], -v[149:150]
	v_mul_f64 v[155:156], v[70:71], s[36:37]
	v_add_f64 v[82:83], v[90:91], v[82:83]
	v_add_f64 v[78:79], v[86:87], v[78:79]
	v_fma_f64 v[141:142], v[66:67], s[20:21], -v[141:142]
	v_add_f64 v[123:124], v[127:128], v[123:124]
	v_fma_f64 v[127:128], v[62:63], s[20:21], v[143:144]
	v_add_f64 v[125:126], v[137:138], v[125:126]
	v_fma_f64 v[137:138], v[66:67], s[6:7], v[151:152]
	v_mul_f64 v[143:144], v[84:85], s[34:35]
	v_add_f64 v[131:132], v[153:154], v[131:132]
	v_fma_f64 v[153:154], v[62:63], s[6:7], -v[155:156]
	v_mul_f64 v[157:158], v[36:37], s[34:35]
	v_add_f64 v[80:81], v[82:83], v[80:81]
	v_add_f64 v[76:77], v[78:79], v[76:77]
	v_add_f64 v[121:122], v[141:142], v[121:122]
	v_fma_f64 v[139:140], v[42:43], s[14:15], -v[139:140]
	v_add_f64 v[123:124], v[127:128], v[123:124]
	v_fma_f64 v[127:128], v[34:35], s[14:15], v[135:136]
	v_add_f64 v[125:126], v[137:138], v[125:126]
	v_fma_f64 v[135:136], v[42:43], s[22:23], v[143:144]
	v_add_f64 v[131:132], v[153:154], v[131:132]
	v_fma_f64 v[137:138], v[34:35], s[22:23], -v[157:158]
	v_mul_f64 v[141:142], v[40:41], s[28:29]
	v_add_f64 v[68:69], v[80:81], v[68:69]
	v_add_f64 v[60:61], v[76:77], v[60:61]
	v_mul_f64 v[153:154], v[38:39], s[28:29]
	v_add_f64 v[121:122], v[139:140], v[121:122]
	v_fma_f64 v[117:118], v[32:33], s[16:17], -v[117:118]
	v_add_f64 v[123:124], v[127:128], v[123:124]
	v_fma_f64 v[127:128], v[30:31], s[16:17], v[133:134]
	v_add_f64 v[125:126], v[135:136], v[125:126]
	v_add_f64 v[131:132], v[137:138], v[131:132]
	v_fma_f64 v[133:134], v[32:33], s[14:15], v[141:142]
	v_mul_f64 v[137:138], v[115:116], s[30:31]
	v_mul_f64 v[139:140], v[119:120], s[30:31]
	v_add_f64 v[58:59], v[68:69], v[58:59]
	v_add_f64 v[56:57], v[60:61], v[56:57]
	v_fma_f64 v[135:136], v[30:31], s[14:15], -v[153:154]
	v_add_f64 v[117:118], v[117:118], v[121:122]
	v_fma_f64 v[129:130], v[96:97], s[20:21], -v[129:130]
	v_add_f64 v[115:116], v[127:128], v[123:124]
	v_fma_f64 v[123:124], v[94:95], s[20:21], v[145:146]
	v_add_f64 v[121:122], v[133:134], v[125:126]
	v_fma_f64 v[125:126], v[96:97], s[14:15], v[137:138]
	v_fma_f64 v[96:97], v[96:97], s[14:15], -v[137:138]
	v_fma_f64 v[127:128], v[94:95], s[14:15], -v[139:140]
	v_fma_f64 v[94:95], v[94:95], s[14:15], v[139:140]
	v_mul_f64 v[92:93], v[92:93], s[26:27]
	v_mul_f64 v[74:75], v[74:75], s[26:27]
	v_add_f64 v[54:55], v[58:59], v[54:55]
	v_add_f64 v[24:25], v[56:57], v[24:25]
	;; [unrolled: 1-line block ×4, first 2 shown]
	v_fma_f64 v[131:132], v[72:73], s[16:17], -v[147:148]
	v_add_f64 v[123:124], v[0:1], v[123:124]
	v_add_f64 v[125:126], v[2:3], v[125:126]
	v_fma_f64 v[90:91], v[72:73], s[20:21], v[92:93]
	v_mul_f64 v[86:87], v[88:89], s[24:25]
	v_add_f64 v[88:89], v[0:1], v[127:128]
	v_add_f64 v[2:3], v[2:3], v[96:97]
	v_add_f64 v[0:1], v[0:1], v[94:95]
	v_fma_f64 v[72:73], v[72:73], s[20:21], -v[92:93]
	v_fma_f64 v[68:69], v[64:65], s[20:21], v[74:75]
	v_mul_f64 v[60:61], v[70:71], s[24:25]
	v_fma_f64 v[133:134], v[64:65], s[16:17], v[149:150]
	v_fma_f64 v[64:65], v[64:65], s[20:21], -v[74:75]
	v_add_f64 v[28:29], v[54:55], v[28:29]
	v_add_f64 v[24:25], v[24:25], v[26:27]
	;; [unrolled: 1-line block ×3, first 2 shown]
	v_fma_f64 v[131:132], v[66:67], s[6:7], -v[151:152]
	v_add_f64 v[82:83], v[90:91], v[125:126]
	v_fma_f64 v[78:79], v[66:67], s[22:23], v[86:87]
	v_mul_f64 v[84:85], v[84:85], s[18:19]
	v_fma_f64 v[66:67], v[66:67], s[22:23], -v[86:87]
	v_add_f64 v[2:3], v[72:73], v[2:3]
	v_add_f64 v[0:1], v[68:69], v[0:1]
	v_fma_f64 v[56:57], v[62:63], s[22:23], v[60:61]
	v_mul_f64 v[26:27], v[36:37], s[18:19]
	v_add_f64 v[123:124], v[133:134], v[123:124]
	v_fma_f64 v[133:134], v[62:63], s[6:7], v[155:156]
	v_fma_f64 v[58:59], v[62:63], s[22:23], -v[60:61]
	v_add_f64 v[60:61], v[64:65], v[88:89]
	v_add_f64 v[14:15], v[28:29], v[14:15]
	;; [unrolled: 1-line block ×3, first 2 shown]
	v_fma_f64 v[90:91], v[42:43], s[22:23], -v[143:144]
	v_add_f64 v[76:77], v[78:79], v[82:83]
	v_fma_f64 v[78:79], v[42:43], s[16:17], v[84:85]
	v_fma_f64 v[42:43], v[42:43], s[16:17], -v[84:85]
	v_add_f64 v[2:3], v[66:67], v[2:3]
	v_mul_f64 v[40:41], v[40:41], s[8:9]
	v_add_f64 v[0:1], v[56:57], v[0:1]
	v_mul_f64 v[38:39], v[38:39], s[8:9]
	v_fma_f64 v[24:25], v[34:35], s[16:17], v[26:27]
	v_add_f64 v[96:97], v[131:132], v[129:130]
	v_add_f64 v[123:124], v[133:134], v[123:124]
	v_fma_f64 v[125:126], v[34:35], s[22:23], v[157:158]
	v_fma_f64 v[26:27], v[34:35], s[16:17], -v[26:27]
	v_add_f64 v[34:35], v[58:59], v[60:61]
	v_add_f64 v[22:23], v[14:15], v[22:23]
	;; [unrolled: 1-line block ×3, first 2 shown]
	v_fma_f64 v[36:37], v[32:33], s[14:15], -v[141:142]
	v_fma_f64 v[28:29], v[32:33], s[6:7], v[40:41]
	v_fma_f64 v[32:33], v[32:33], s[6:7], -v[40:41]
	v_add_f64 v[40:41], v[42:43], v[2:3]
	v_fma_f64 v[42:43], v[30:31], s[6:7], v[38:39]
	v_add_f64 v[20:21], v[24:25], v[0:1]
	v_add_f64 v[80:81], v[90:91], v[96:97]
	;; [unrolled: 1-line block ×3, first 2 shown]
	v_fma_f64 v[54:55], v[30:31], s[14:15], v[153:154]
	v_fma_f64 v[24:25], v[30:31], s[6:7], -v[38:39]
	v_add_f64 v[26:27], v[26:27], v[34:35]
	v_add_f64 v[70:71], v[78:79], v[76:77]
	;; [unrolled: 1-line block ×9, first 2 shown]
	v_mov_b32_e32 v25, 4
	v_mul_u32_u24_e32 v24, 0x1ce0, v101
	v_lshlrev_b32_sdwa v25, v25, v102 dst_sel:DWORD dst_unused:UNUSED_PAD src0_sel:DWORD src1_sel:BYTE_0
	v_add3_u32 v24, 0, v24, v25
	v_add_f64 v[22:23], v[28:29], v[70:71]
	ds_write_b128 v24, v[16:19]
	ds_write_b128 v24, v[12:15] offset:672
	ds_write_b128 v24, v[0:3] offset:1344
	;; [unrolled: 1-line block ×10, first 2 shown]
.LBB0_21:
	s_or_b64 exec, exec, s[4:5]
	v_lshlrev_b32_e32 v1, 1, v48
	v_mov_b32_e32 v2, 0
	v_lshlrev_b64 v[0:1], 4, v[1:2]
	v_mov_b32_e32 v13, s13
	v_add_co_u32_e32 v3, vcc, s12, v0
	v_addc_co_u32_e32 v4, vcc, v13, v1, vcc
	s_movk_i32 s4, 0x1cc0
	v_add_co_u32_e32 v0, vcc, s4, v3
	v_addc_co_u32_e32 v1, vcc, 0, v4, vcc
	s_movk_i32 s5, 0x1000
	v_add_co_u32_e32 v11, vcc, s5, v3
	v_addc_co_u32_e32 v12, vcc, 0, v4, vcc
	v_mov_b32_e32 v54, v2
	s_waitcnt lgkmcnt(0)
	s_barrier
	global_load_dwordx4 v[3:6], v[11:12], off offset:3264
	global_load_dwordx4 v[7:10], v[0:1], off offset:16
	v_lshlrev_b64 v[0:1], 4, v[53:54]
	s_mov_b32 s7, 0x3febb67a
	v_add_co_u32_e32 v11, vcc, s12, v0
	v_addc_co_u32_e32 v12, vcc, v13, v1, vcc
	v_add_co_u32_e32 v0, vcc, s5, v11
	v_addc_co_u32_e32 v1, vcc, 0, v12, vcc
	global_load_dwordx4 v[13:16], v[0:1], off offset:3264
	v_add_co_u32_e32 v0, vcc, s4, v11
	v_addc_co_u32_e32 v1, vcc, 0, v12, vcc
	global_load_dwordx4 v[17:20], v[0:1], off offset:16
	v_add_u32_e32 v12, v51, v100
	ds_read_b128 v[21:24], v98
	ds_read_b128 v[25:28], v98 offset:11088
	ds_read_b128 v[29:32], v98 offset:14784
	ds_read_b128 v[33:36], v98 offset:18480
	ds_read_b128 v[37:40], v12
	ds_read_b128 v[53:56], v99
	s_mov_b32 s4, 0xe8584caa
	s_mov_b32 s5, 0xbfebb67a
	;; [unrolled: 1-line block ×3, first 2 shown]
	s_waitcnt vmcnt(0) lgkmcnt(0)
	s_barrier
	v_cmp_ne_u32_e32 vcc, 0, v48
	v_mul_f64 v[0:1], v[39:40], v[5:6]
	v_mul_f64 v[5:6], v[37:38], v[5:6]
	;; [unrolled: 1-line block ×4, first 2 shown]
	v_fma_f64 v[0:1], v[37:38], v[3:4], v[0:1]
	v_fma_f64 v[3:4], v[39:40], v[3:4], -v[5:6]
	v_fma_f64 v[5:6], v[29:30], v[7:8], v[41:42]
	v_fma_f64 v[7:8], v[31:32], v[7:8], -v[9:10]
	v_mul_f64 v[57:58], v[27:28], v[15:16]
	v_mul_f64 v[15:16], v[25:26], v[15:16]
	;; [unrolled: 1-line block ×4, first 2 shown]
	v_add_f64 v[31:32], v[3:4], v[7:8]
	v_fma_f64 v[9:10], v[25:26], v[13:14], v[57:58]
	v_fma_f64 v[13:14], v[27:28], v[13:14], -v[15:16]
	v_add_f64 v[25:26], v[0:1], v[5:6]
	v_add_f64 v[29:30], v[23:24], v[3:4]
	v_add_f64 v[27:28], v[3:4], -v[7:8]
	v_fma_f64 v[15:16], v[33:34], v[17:18], v[59:60]
	v_fma_f64 v[17:18], v[35:36], v[17:18], -v[19:20]
	v_add_f64 v[19:20], v[21:22], v[0:1]
	v_add_f64 v[0:1], v[0:1], -v[5:6]
	v_add_f64 v[39:40], v[55:56], v[13:14]
	v_add_f64 v[33:34], v[53:54], v[9:10]
	v_fma_f64 v[21:22], v[25:26], -0.5, v[21:22]
	v_add_f64 v[35:36], v[9:10], v[15:16]
	v_add_f64 v[37:38], v[13:14], -v[17:18]
	v_add_f64 v[13:14], v[13:14], v[17:18]
	v_add_f64 v[3:4], v[19:20], v[5:6]
	v_fma_f64 v[19:20], v[31:32], -0.5, v[23:24]
	v_add_f64 v[41:42], v[9:10], -v[15:16]
	v_add_f64 v[5:6], v[29:30], v[7:8]
	v_add_f64 v[7:8], v[33:34], v[15:16]
	v_fma_f64 v[23:24], v[35:36], -0.5, v[53:54]
	v_add_f64 v[9:10], v[39:40], v[17:18]
	v_fma_f64 v[29:30], v[13:14], -0.5, v[55:56]
	v_fma_f64 v[13:14], v[27:28], s[4:5], v[21:22]
	v_fma_f64 v[15:16], v[0:1], s[6:7], v[19:20]
	;; [unrolled: 1-line block ×4, first 2 shown]
                                        ; implicit-def: $vgpr0_vgpr1
	v_fma_f64 v[21:22], v[37:38], s[4:5], v[23:24]
	v_fma_f64 v[25:26], v[37:38], s[6:7], v[23:24]
	;; [unrolled: 1-line block ×4, first 2 shown]
	ds_write_b128 v98, v[3:6]
	ds_write_b128 v98, v[13:16] offset:7392
	ds_write_b128 v98, v[17:20] offset:14784
	ds_write_b128 v99, v[7:10]
	ds_write_b128 v99, v[21:24] offset:7392
	ds_write_b128 v99, v[25:28] offset:14784
	s_waitcnt lgkmcnt(0)
	s_barrier
	ds_read_b128 v[4:7], v98
	s_add_u32 s6, s12, 0x5680
	s_addc_u32 s7, s13, 0
	v_sub_u32_e32 v13, 0, v49
                                        ; implicit-def: $vgpr8_vgpr9
                                        ; implicit-def: $vgpr10_vgpr11
	s_and_saveexec_b64 s[4:5], vcc
	s_xor_b64 s[4:5], exec, s[4:5]
	s_cbranch_execz .LBB0_23
; %bb.22:
	v_mov_b32_e32 v49, v2
	v_lshlrev_b64 v[0:1], 4, v[48:49]
	v_mov_b32_e32 v2, s7
	v_add_co_u32_e32 v0, vcc, s6, v0
	v_addc_co_u32_e32 v1, vcc, v2, v1, vcc
	global_load_dwordx4 v[14:17], v[0:1], off
	ds_read_b128 v[0:3], v13 offset:22176
	s_waitcnt lgkmcnt(0)
	v_add_f64 v[8:9], v[4:5], -v[0:1]
	v_add_f64 v[10:11], v[6:7], v[2:3]
	v_add_f64 v[2:3], v[6:7], -v[2:3]
	v_add_f64 v[0:1], v[4:5], v[0:1]
	v_mul_f64 v[6:7], v[8:9], 0.5
	v_mul_f64 v[4:5], v[10:11], 0.5
	;; [unrolled: 1-line block ×3, first 2 shown]
	s_waitcnt vmcnt(0)
	v_mul_f64 v[8:9], v[6:7], v[16:17]
	v_fma_f64 v[10:11], v[4:5], v[16:17], v[2:3]
	v_fma_f64 v[2:3], v[4:5], v[16:17], -v[2:3]
	v_fma_f64 v[18:19], v[0:1], 0.5, v[8:9]
	v_fma_f64 v[0:1], v[0:1], 0.5, -v[8:9]
	v_fma_f64 v[10:11], -v[14:15], v[6:7], v[10:11]
	v_fma_f64 v[2:3], -v[14:15], v[6:7], v[2:3]
	v_fma_f64 v[8:9], v[4:5], v[14:15], v[18:19]
	v_fma_f64 v[0:1], -v[4:5], v[14:15], v[0:1]
                                        ; implicit-def: $vgpr4_vgpr5
.LBB0_23:
	s_andn2_saveexec_b64 s[4:5], s[4:5]
	s_cbranch_execz .LBB0_25
; %bb.24:
	s_waitcnt lgkmcnt(0)
	v_add_f64 v[8:9], v[4:5], v[6:7]
	v_add_f64 v[0:1], v[4:5], -v[6:7]
	v_mov_b32_e32 v4, 0
	ds_read_b64 v[2:3], v4 offset:11096
	v_mov_b32_e32 v10, 0
	v_mov_b32_e32 v11, 0
	s_waitcnt lgkmcnt(0)
	v_xor_b32_e32 v3, 0x80000000, v3
	ds_write_b64 v4, v[2:3] offset:11096
	v_mov_b32_e32 v2, v10
	v_mov_b32_e32 v3, v11
.LBB0_25:
	s_or_b64 exec, exec, s[4:5]
	v_mov_b32_e32 v51, 0
	s_waitcnt lgkmcnt(0)
	v_lshlrev_b64 v[4:5], 4, v[50:51]
	v_mov_b32_e32 v6, s7
	v_add_co_u32_e32 v4, vcc, s6, v4
	v_addc_co_u32_e32 v5, vcc, v6, v5, vcc
	global_load_dwordx4 v[4:7], v[4:5], off
	v_mov_b32_e32 v53, v51
	v_lshlrev_b64 v[14:15], 4, v[52:53]
	v_mov_b32_e32 v16, s7
	v_add_co_u32_e32 v14, vcc, s6, v14
	v_addc_co_u32_e32 v15, vcc, v16, v15, vcc
	global_load_dwordx4 v[14:17], v[14:15], off
	ds_write2_b64 v98, v[8:9], v[10:11] offset1:1
	ds_write_b128 v13, v[0:3] offset:22176
	ds_read_b128 v[0:3], v99
	ds_read_b128 v[8:11], v13 offset:18480
	s_waitcnt lgkmcnt(0)
	v_add_f64 v[18:19], v[0:1], -v[8:9]
	v_add_f64 v[20:21], v[2:3], v[10:11]
	v_add_f64 v[2:3], v[2:3], -v[10:11]
	v_add_f64 v[0:1], v[0:1], v[8:9]
	v_mul_f64 v[10:11], v[18:19], 0.5
	v_mul_f64 v[18:19], v[20:21], 0.5
	;; [unrolled: 1-line block ×3, first 2 shown]
	s_waitcnt vmcnt(1)
	v_mul_f64 v[8:9], v[10:11], v[6:7]
	v_fma_f64 v[20:21], v[18:19], v[6:7], v[2:3]
	v_fma_f64 v[2:3], v[18:19], v[6:7], -v[2:3]
	v_fma_f64 v[6:7], v[0:1], 0.5, v[8:9]
	v_fma_f64 v[0:1], v[0:1], 0.5, -v[8:9]
	v_fma_f64 v[8:9], -v[4:5], v[10:11], v[20:21]
	v_fma_f64 v[2:3], -v[4:5], v[10:11], v[2:3]
	v_fma_f64 v[6:7], v[18:19], v[4:5], v[6:7]
	v_fma_f64 v[0:1], -v[18:19], v[4:5], v[0:1]
	ds_write2_b64 v99, v[6:7], v[8:9] offset1:1
	ds_write_b128 v13, v[0:3] offset:18480
	ds_read_b128 v[0:3], v12
	ds_read_b128 v[4:7], v13 offset:14784
	s_waitcnt lgkmcnt(0)
	v_add_f64 v[8:9], v[0:1], -v[4:5]
	v_add_f64 v[10:11], v[2:3], v[6:7]
	v_add_f64 v[2:3], v[2:3], -v[6:7]
	v_add_f64 v[0:1], v[0:1], v[4:5]
	v_mul_f64 v[6:7], v[8:9], 0.5
	v_mul_f64 v[8:9], v[10:11], 0.5
	;; [unrolled: 1-line block ×3, first 2 shown]
	s_waitcnt vmcnt(0)
	v_mul_f64 v[4:5], v[6:7], v[16:17]
	v_fma_f64 v[10:11], v[8:9], v[16:17], v[2:3]
	v_fma_f64 v[2:3], v[8:9], v[16:17], -v[2:3]
	v_fma_f64 v[16:17], v[0:1], 0.5, v[4:5]
	v_fma_f64 v[0:1], v[0:1], 0.5, -v[4:5]
	v_fma_f64 v[4:5], -v[14:15], v[6:7], v[10:11]
	v_fma_f64 v[2:3], -v[14:15], v[6:7], v[2:3]
	v_fma_f64 v[6:7], v[8:9], v[14:15], v[16:17]
	v_fma_f64 v[0:1], -v[8:9], v[14:15], v[0:1]
	ds_write_b64 v12, v[4:5] offset:8
	ds_write_b64 v13, v[2:3] offset:14792
	ds_write_b64 v12, v[6:7]
	ds_write_b64 v13, v[0:1] offset:14784
	s_waitcnt lgkmcnt(0)
	s_barrier
	s_and_saveexec_b64 s[4:5], s[0:1]
	s_cbranch_execz .LBB0_28
; %bb.26:
	v_mul_lo_u32 v2, s3, v46
	v_mul_lo_u32 v3, s2, v47
	v_mad_u64_u32 v[0:1], s[0:1], s2, v46, 0
	v_mov_b32_e32 v6, s11
	v_lshl_add_u32 v12, v48, 4, 0
	v_add3_u32 v1, v1, v3, v2
	v_lshlrev_b64 v[0:1], 4, v[0:1]
	v_mov_b32_e32 v49, v51
	v_add_co_u32_e32 v0, vcc, s10, v0
	v_addc_co_u32_e32 v8, vcc, v6, v1, vcc
	v_lshlrev_b64 v[6:7], 4, v[44:45]
	ds_read_b128 v[2:5], v12
	v_add_co_u32_e32 v1, vcc, v0, v6
	v_addc_co_u32_e32 v0, vcc, v8, v7, vcc
	v_lshlrev_b64 v[6:7], 4, v[48:49]
	v_add_u32_e32 v50, 0xe7, v48
	v_add_co_u32_e32 v10, vcc, v1, v6
	v_addc_co_u32_e32 v11, vcc, v0, v7, vcc
	ds_read_b128 v[6:9], v12 offset:3696
	s_waitcnt lgkmcnt(1)
	global_store_dwordx4 v[10:11], v[2:5], off
	s_movk_i32 s0, 0xe6
	v_lshlrev_b64 v[2:3], 4, v[50:51]
	v_add_u32_e32 v50, 0x1ce, v48
	v_add_co_u32_e32 v2, vcc, v1, v2
	v_addc_co_u32_e32 v3, vcc, v0, v3, vcc
	s_waitcnt lgkmcnt(0)
	global_store_dwordx4 v[2:3], v[6:9], off
	ds_read_b128 v[2:5], v12 offset:7392
	v_lshlrev_b64 v[6:7], 4, v[50:51]
	v_add_u32_e32 v50, 0x2b5, v48
	v_add_co_u32_e32 v10, vcc, v1, v6
	v_addc_co_u32_e32 v11, vcc, v0, v7, vcc
	ds_read_b128 v[6:9], v12 offset:11088
	s_waitcnt lgkmcnt(1)
	global_store_dwordx4 v[10:11], v[2:5], off
	s_nop 0
	v_lshlrev_b64 v[2:3], 4, v[50:51]
	v_add_u32_e32 v50, 0x39c, v48
	v_add_co_u32_e32 v2, vcc, v1, v2
	v_addc_co_u32_e32 v3, vcc, v0, v3, vcc
	s_waitcnt lgkmcnt(0)
	global_store_dwordx4 v[2:3], v[6:9], off
	ds_read_b128 v[2:5], v12 offset:14784
	v_lshlrev_b64 v[6:7], 4, v[50:51]
	v_add_u32_e32 v50, 0x483, v48
	v_add_co_u32_e32 v10, vcc, v1, v6
	v_addc_co_u32_e32 v11, vcc, v0, v7, vcc
	ds_read_b128 v[6:9], v12 offset:18480
	s_waitcnt lgkmcnt(1)
	global_store_dwordx4 v[10:11], v[2:5], off
	s_nop 0
	v_lshlrev_b64 v[2:3], 4, v[50:51]
	v_add_co_u32_e32 v2, vcc, v1, v2
	v_addc_co_u32_e32 v3, vcc, v0, v3, vcc
	v_cmp_eq_u32_e32 vcc, s0, v48
	s_waitcnt lgkmcnt(0)
	global_store_dwordx4 v[2:3], v[6:9], off
	s_and_b64 exec, exec, vcc
	s_cbranch_execz .LBB0_28
; %bb.27:
	v_mov_b32_e32 v2, 0
	ds_read_b128 v[2:5], v2 offset:22176
	v_add_co_u32_e32 v6, vcc, 0x5000, v1
	v_addc_co_u32_e32 v7, vcc, 0, v0, vcc
	s_waitcnt lgkmcnt(0)
	global_store_dwordx4 v[6:7], v[2:5], off offset:1696
.LBB0_28:
	s_endpgm
	.section	.rodata,"a",@progbits
	.p2align	6, 0x0
	.amdhsa_kernel fft_rtc_back_len1386_factors_2_7_3_11_3_wgs_231_tpt_231_halfLds_dp_op_CI_CI_unitstride_sbrr_R2C_dirReg
		.amdhsa_group_segment_fixed_size 0
		.amdhsa_private_segment_fixed_size 0
		.amdhsa_kernarg_size 104
		.amdhsa_user_sgpr_count 6
		.amdhsa_user_sgpr_private_segment_buffer 1
		.amdhsa_user_sgpr_dispatch_ptr 0
		.amdhsa_user_sgpr_queue_ptr 0
		.amdhsa_user_sgpr_kernarg_segment_ptr 1
		.amdhsa_user_sgpr_dispatch_id 0
		.amdhsa_user_sgpr_flat_scratch_init 0
		.amdhsa_user_sgpr_private_segment_size 0
		.amdhsa_uses_dynamic_stack 0
		.amdhsa_system_sgpr_private_segment_wavefront_offset 0
		.amdhsa_system_sgpr_workgroup_id_x 1
		.amdhsa_system_sgpr_workgroup_id_y 0
		.amdhsa_system_sgpr_workgroup_id_z 0
		.amdhsa_system_sgpr_workgroup_info 0
		.amdhsa_system_vgpr_workitem_id 0
		.amdhsa_next_free_vgpr 159
		.amdhsa_next_free_sgpr 38
		.amdhsa_reserve_vcc 1
		.amdhsa_reserve_flat_scratch 0
		.amdhsa_float_round_mode_32 0
		.amdhsa_float_round_mode_16_64 0
		.amdhsa_float_denorm_mode_32 3
		.amdhsa_float_denorm_mode_16_64 3
		.amdhsa_dx10_clamp 1
		.amdhsa_ieee_mode 1
		.amdhsa_fp16_overflow 0
		.amdhsa_exception_fp_ieee_invalid_op 0
		.amdhsa_exception_fp_denorm_src 0
		.amdhsa_exception_fp_ieee_div_zero 0
		.amdhsa_exception_fp_ieee_overflow 0
		.amdhsa_exception_fp_ieee_underflow 0
		.amdhsa_exception_fp_ieee_inexact 0
		.amdhsa_exception_int_div_zero 0
	.end_amdhsa_kernel
	.text
.Lfunc_end0:
	.size	fft_rtc_back_len1386_factors_2_7_3_11_3_wgs_231_tpt_231_halfLds_dp_op_CI_CI_unitstride_sbrr_R2C_dirReg, .Lfunc_end0-fft_rtc_back_len1386_factors_2_7_3_11_3_wgs_231_tpt_231_halfLds_dp_op_CI_CI_unitstride_sbrr_R2C_dirReg
                                        ; -- End function
	.section	.AMDGPU.csdata,"",@progbits
; Kernel info:
; codeLenInByte = 8680
; NumSgprs: 42
; NumVgprs: 159
; ScratchSize: 0
; MemoryBound: 0
; FloatMode: 240
; IeeeMode: 1
; LDSByteSize: 0 bytes/workgroup (compile time only)
; SGPRBlocks: 5
; VGPRBlocks: 39
; NumSGPRsForWavesPerEU: 42
; NumVGPRsForWavesPerEU: 159
; Occupancy: 1
; WaveLimiterHint : 1
; COMPUTE_PGM_RSRC2:SCRATCH_EN: 0
; COMPUTE_PGM_RSRC2:USER_SGPR: 6
; COMPUTE_PGM_RSRC2:TRAP_HANDLER: 0
; COMPUTE_PGM_RSRC2:TGID_X_EN: 1
; COMPUTE_PGM_RSRC2:TGID_Y_EN: 0
; COMPUTE_PGM_RSRC2:TGID_Z_EN: 0
; COMPUTE_PGM_RSRC2:TIDIG_COMP_CNT: 0
	.type	__hip_cuid_dfa20abc42a7168a,@object ; @__hip_cuid_dfa20abc42a7168a
	.section	.bss,"aw",@nobits
	.globl	__hip_cuid_dfa20abc42a7168a
__hip_cuid_dfa20abc42a7168a:
	.byte	0                               ; 0x0
	.size	__hip_cuid_dfa20abc42a7168a, 1

	.ident	"AMD clang version 19.0.0git (https://github.com/RadeonOpenCompute/llvm-project roc-6.4.0 25133 c7fe45cf4b819c5991fe208aaa96edf142730f1d)"
	.section	".note.GNU-stack","",@progbits
	.addrsig
	.addrsig_sym __hip_cuid_dfa20abc42a7168a
	.amdgpu_metadata
---
amdhsa.kernels:
  - .args:
      - .actual_access:  read_only
        .address_space:  global
        .offset:         0
        .size:           8
        .value_kind:     global_buffer
      - .offset:         8
        .size:           8
        .value_kind:     by_value
      - .actual_access:  read_only
        .address_space:  global
        .offset:         16
        .size:           8
        .value_kind:     global_buffer
      - .actual_access:  read_only
        .address_space:  global
        .offset:         24
        .size:           8
        .value_kind:     global_buffer
      - .actual_access:  read_only
        .address_space:  global
        .offset:         32
        .size:           8
        .value_kind:     global_buffer
      - .offset:         40
        .size:           8
        .value_kind:     by_value
      - .actual_access:  read_only
        .address_space:  global
        .offset:         48
        .size:           8
        .value_kind:     global_buffer
      - .actual_access:  read_only
        .address_space:  global
        .offset:         56
        .size:           8
        .value_kind:     global_buffer
      - .offset:         64
        .size:           4
        .value_kind:     by_value
      - .actual_access:  read_only
        .address_space:  global
        .offset:         72
        .size:           8
        .value_kind:     global_buffer
      - .actual_access:  read_only
        .address_space:  global
        .offset:         80
        .size:           8
        .value_kind:     global_buffer
      - .actual_access:  read_only
        .address_space:  global
        .offset:         88
        .size:           8
        .value_kind:     global_buffer
      - .actual_access:  write_only
        .address_space:  global
        .offset:         96
        .size:           8
        .value_kind:     global_buffer
    .group_segment_fixed_size: 0
    .kernarg_segment_align: 8
    .kernarg_segment_size: 104
    .language:       OpenCL C
    .language_version:
      - 2
      - 0
    .max_flat_workgroup_size: 231
    .name:           fft_rtc_back_len1386_factors_2_7_3_11_3_wgs_231_tpt_231_halfLds_dp_op_CI_CI_unitstride_sbrr_R2C_dirReg
    .private_segment_fixed_size: 0
    .sgpr_count:     42
    .sgpr_spill_count: 0
    .symbol:         fft_rtc_back_len1386_factors_2_7_3_11_3_wgs_231_tpt_231_halfLds_dp_op_CI_CI_unitstride_sbrr_R2C_dirReg.kd
    .uniform_work_group_size: 1
    .uses_dynamic_stack: false
    .vgpr_count:     159
    .vgpr_spill_count: 0
    .wavefront_size: 64
amdhsa.target:   amdgcn-amd-amdhsa--gfx906
amdhsa.version:
  - 1
  - 2
...

	.end_amdgpu_metadata
